;; amdgpu-corpus repo=ROCm/rocFFT kind=compiled arch=gfx1201 opt=O3
	.text
	.amdgcn_target "amdgcn-amd-amdhsa--gfx1201"
	.amdhsa_code_object_version 6
	.protected	fft_rtc_fwd_len672_factors_2_2_2_2_2_3_7_wgs_56_tpt_56_halfLds_sp_op_CI_CI_sbrr_dirReg ; -- Begin function fft_rtc_fwd_len672_factors_2_2_2_2_2_3_7_wgs_56_tpt_56_halfLds_sp_op_CI_CI_sbrr_dirReg
	.globl	fft_rtc_fwd_len672_factors_2_2_2_2_2_3_7_wgs_56_tpt_56_halfLds_sp_op_CI_CI_sbrr_dirReg
	.p2align	8
	.type	fft_rtc_fwd_len672_factors_2_2_2_2_2_3_7_wgs_56_tpt_56_halfLds_sp_op_CI_CI_sbrr_dirReg,@function
fft_rtc_fwd_len672_factors_2_2_2_2_2_3_7_wgs_56_tpt_56_halfLds_sp_op_CI_CI_sbrr_dirReg: ; @fft_rtc_fwd_len672_factors_2_2_2_2_2_3_7_wgs_56_tpt_56_halfLds_sp_op_CI_CI_sbrr_dirReg
; %bb.0:
	s_clause 0x2
	s_load_b128 s[12:15], s[0:1], 0x18
	s_load_b128 s[4:7], s[0:1], 0x0
	;; [unrolled: 1-line block ×3, first 2 shown]
	v_mul_u32_u24_e32 v1, 0x493, v0
	v_mov_b32_e32 v7, 0
	v_mov_b32_e32 v5, 0
	;; [unrolled: 1-line block ×3, first 2 shown]
	s_wait_kmcnt 0x0
	s_load_b64 s[18:19], s[12:13], 0x0
	s_load_b64 s[16:17], s[14:15], 0x0
	v_lshrrev_b32_e32 v1, 16, v1
	v_cmp_lt_u64_e64 s2, s[6:7], 2
	s_delay_alu instid0(VALU_DEP_2) | instskip(NEXT) | instid1(VALU_DEP_2)
	v_dual_mov_b32 v10, v7 :: v_dual_add_nc_u32 v9, ttmp9, v1
	s_and_b32 vcc_lo, exec_lo, s2
	s_cbranch_vccnz .LBB0_8
; %bb.1:
	s_load_b64 s[2:3], s[0:1], 0x10
	v_mov_b32_e32 v5, 0
	v_mov_b32_e32 v6, 0
	s_delay_alu instid0(VALU_DEP_2)
	v_mov_b32_e32 v1, v5
	s_add_nc_u64 s[20:21], s[14:15], 8
	s_add_nc_u64 s[22:23], s[12:13], 8
	s_mov_b64 s[24:25], 1
	v_mov_b32_e32 v2, v6
	s_wait_kmcnt 0x0
	s_add_nc_u64 s[26:27], s[2:3], 8
	s_mov_b32 s3, 0
.LBB0_2:                                ; =>This Inner Loop Header: Depth=1
	s_load_b64 s[28:29], s[26:27], 0x0
                                        ; implicit-def: $vgpr3_vgpr4
	s_mov_b32 s2, exec_lo
	s_wait_kmcnt 0x0
	v_or_b32_e32 v8, s29, v10
	s_delay_alu instid0(VALU_DEP_1)
	v_cmpx_ne_u64_e32 0, v[7:8]
	s_wait_alu 0xfffe
	s_xor_b32 s30, exec_lo, s2
	s_cbranch_execz .LBB0_4
; %bb.3:                                ;   in Loop: Header=BB0_2 Depth=1
	s_cvt_f32_u32 s2, s28
	s_cvt_f32_u32 s31, s29
	s_sub_nc_u64 s[36:37], 0, s[28:29]
	s_wait_alu 0xfffe
	s_delay_alu instid0(SALU_CYCLE_1) | instskip(SKIP_1) | instid1(SALU_CYCLE_2)
	s_fmamk_f32 s2, s31, 0x4f800000, s2
	s_wait_alu 0xfffe
	v_s_rcp_f32 s2, s2
	s_delay_alu instid0(TRANS32_DEP_1) | instskip(SKIP_1) | instid1(SALU_CYCLE_2)
	s_mul_f32 s2, s2, 0x5f7ffffc
	s_wait_alu 0xfffe
	s_mul_f32 s31, s2, 0x2f800000
	s_wait_alu 0xfffe
	s_delay_alu instid0(SALU_CYCLE_2) | instskip(SKIP_1) | instid1(SALU_CYCLE_2)
	s_trunc_f32 s31, s31
	s_wait_alu 0xfffe
	s_fmamk_f32 s2, s31, 0xcf800000, s2
	s_cvt_u32_f32 s35, s31
	s_wait_alu 0xfffe
	s_delay_alu instid0(SALU_CYCLE_1) | instskip(SKIP_1) | instid1(SALU_CYCLE_2)
	s_cvt_u32_f32 s34, s2
	s_wait_alu 0xfffe
	s_mul_u64 s[38:39], s[36:37], s[34:35]
	s_wait_alu 0xfffe
	s_mul_hi_u32 s41, s34, s39
	s_mul_i32 s40, s34, s39
	s_mul_hi_u32 s2, s34, s38
	s_mul_i32 s33, s35, s38
	s_wait_alu 0xfffe
	s_add_nc_u64 s[40:41], s[2:3], s[40:41]
	s_mul_hi_u32 s31, s35, s38
	s_mul_hi_u32 s42, s35, s39
	s_add_co_u32 s2, s40, s33
	s_wait_alu 0xfffe
	s_add_co_ci_u32 s2, s41, s31
	s_mul_i32 s38, s35, s39
	s_add_co_ci_u32 s39, s42, 0
	s_wait_alu 0xfffe
	s_add_nc_u64 s[38:39], s[2:3], s[38:39]
	s_wait_alu 0xfffe
	v_add_co_u32 v3, s2, s34, s38
	s_delay_alu instid0(VALU_DEP_1) | instskip(SKIP_1) | instid1(VALU_DEP_1)
	s_cmp_lg_u32 s2, 0
	s_add_co_ci_u32 s35, s35, s39
	v_readfirstlane_b32 s34, v3
	s_wait_alu 0xfffe
	s_delay_alu instid0(VALU_DEP_1)
	s_mul_u64 s[36:37], s[36:37], s[34:35]
	s_wait_alu 0xfffe
	s_mul_hi_u32 s39, s34, s37
	s_mul_i32 s38, s34, s37
	s_mul_hi_u32 s2, s34, s36
	s_mul_i32 s33, s35, s36
	s_wait_alu 0xfffe
	s_add_nc_u64 s[38:39], s[2:3], s[38:39]
	s_mul_hi_u32 s31, s35, s36
	s_mul_hi_u32 s34, s35, s37
	s_wait_alu 0xfffe
	s_add_co_u32 s2, s38, s33
	s_add_co_ci_u32 s2, s39, s31
	s_mul_i32 s36, s35, s37
	s_add_co_ci_u32 s37, s34, 0
	s_wait_alu 0xfffe
	s_add_nc_u64 s[36:37], s[2:3], s[36:37]
	s_wait_alu 0xfffe
	v_add_co_u32 v8, s2, v3, s36
	s_delay_alu instid0(VALU_DEP_1) | instskip(SKIP_1) | instid1(VALU_DEP_1)
	s_cmp_lg_u32 s2, 0
	s_add_co_ci_u32 s2, s35, s37
	v_mul_hi_u32 v15, v9, v8
	s_wait_alu 0xfffe
	v_mad_co_u64_u32 v[3:4], null, v9, s2, 0
	v_mad_co_u64_u32 v[11:12], null, v10, v8, 0
	;; [unrolled: 1-line block ×3, first 2 shown]
	s_delay_alu instid0(VALU_DEP_3) | instskip(SKIP_1) | instid1(VALU_DEP_4)
	v_add_co_u32 v3, vcc_lo, v15, v3
	s_wait_alu 0xfffd
	v_add_co_ci_u32_e32 v4, vcc_lo, 0, v4, vcc_lo
	s_delay_alu instid0(VALU_DEP_2) | instskip(SKIP_1) | instid1(VALU_DEP_2)
	v_add_co_u32 v3, vcc_lo, v3, v11
	s_wait_alu 0xfffd
	v_add_co_ci_u32_e32 v3, vcc_lo, v4, v12, vcc_lo
	s_wait_alu 0xfffd
	v_add_co_ci_u32_e32 v4, vcc_lo, 0, v14, vcc_lo
	s_delay_alu instid0(VALU_DEP_2) | instskip(SKIP_1) | instid1(VALU_DEP_2)
	v_add_co_u32 v8, vcc_lo, v3, v13
	s_wait_alu 0xfffd
	v_add_co_ci_u32_e32 v11, vcc_lo, 0, v4, vcc_lo
	s_delay_alu instid0(VALU_DEP_2) | instskip(SKIP_1) | instid1(VALU_DEP_3)
	v_mul_lo_u32 v12, s29, v8
	v_mad_co_u64_u32 v[3:4], null, s28, v8, 0
	v_mul_lo_u32 v13, s28, v11
	s_delay_alu instid0(VALU_DEP_2) | instskip(NEXT) | instid1(VALU_DEP_2)
	v_sub_co_u32 v3, vcc_lo, v9, v3
	v_add3_u32 v4, v4, v13, v12
	s_delay_alu instid0(VALU_DEP_1) | instskip(SKIP_1) | instid1(VALU_DEP_1)
	v_sub_nc_u32_e32 v12, v10, v4
	s_wait_alu 0xfffd
	v_subrev_co_ci_u32_e64 v12, s2, s29, v12, vcc_lo
	v_add_co_u32 v13, s2, v8, 2
	s_wait_alu 0xf1ff
	v_add_co_ci_u32_e64 v14, s2, 0, v11, s2
	v_sub_co_u32 v15, s2, v3, s28
	v_sub_co_ci_u32_e32 v4, vcc_lo, v10, v4, vcc_lo
	s_wait_alu 0xf1ff
	v_subrev_co_ci_u32_e64 v12, s2, 0, v12, s2
	s_delay_alu instid0(VALU_DEP_3) | instskip(NEXT) | instid1(VALU_DEP_3)
	v_cmp_le_u32_e32 vcc_lo, s28, v15
	v_cmp_eq_u32_e64 s2, s29, v4
	s_wait_alu 0xfffd
	v_cndmask_b32_e64 v15, 0, -1, vcc_lo
	v_cmp_le_u32_e32 vcc_lo, s29, v12
	s_wait_alu 0xfffd
	v_cndmask_b32_e64 v16, 0, -1, vcc_lo
	v_cmp_le_u32_e32 vcc_lo, s28, v3
	;; [unrolled: 3-line block ×3, first 2 shown]
	s_wait_alu 0xfffd
	v_cndmask_b32_e64 v17, 0, -1, vcc_lo
	v_cmp_eq_u32_e32 vcc_lo, s29, v12
	s_wait_alu 0xf1ff
	s_delay_alu instid0(VALU_DEP_2)
	v_cndmask_b32_e64 v3, v17, v3, s2
	s_wait_alu 0xfffd
	v_cndmask_b32_e32 v12, v16, v15, vcc_lo
	v_add_co_u32 v15, vcc_lo, v8, 1
	s_wait_alu 0xfffd
	v_add_co_ci_u32_e32 v16, vcc_lo, 0, v11, vcc_lo
	s_delay_alu instid0(VALU_DEP_3) | instskip(SKIP_1) | instid1(VALU_DEP_2)
	v_cmp_ne_u32_e32 vcc_lo, 0, v12
	s_wait_alu 0xfffd
	v_cndmask_b32_e32 v4, v16, v14, vcc_lo
	v_cndmask_b32_e32 v12, v15, v13, vcc_lo
	v_cmp_ne_u32_e32 vcc_lo, 0, v3
	s_wait_alu 0xfffd
	s_delay_alu instid0(VALU_DEP_3) | instskip(NEXT) | instid1(VALU_DEP_3)
	v_cndmask_b32_e32 v4, v11, v4, vcc_lo
	v_cndmask_b32_e32 v3, v8, v12, vcc_lo
.LBB0_4:                                ;   in Loop: Header=BB0_2 Depth=1
	s_wait_alu 0xfffe
	s_and_not1_saveexec_b32 s2, s30
	s_cbranch_execz .LBB0_6
; %bb.5:                                ;   in Loop: Header=BB0_2 Depth=1
	v_cvt_f32_u32_e32 v3, s28
	s_sub_co_i32 s30, 0, s28
	s_delay_alu instid0(VALU_DEP_1) | instskip(NEXT) | instid1(TRANS32_DEP_1)
	v_rcp_iflag_f32_e32 v3, v3
	v_mul_f32_e32 v3, 0x4f7ffffe, v3
	s_delay_alu instid0(VALU_DEP_1) | instskip(SKIP_1) | instid1(VALU_DEP_1)
	v_cvt_u32_f32_e32 v3, v3
	s_wait_alu 0xfffe
	v_mul_lo_u32 v4, s30, v3
	s_delay_alu instid0(VALU_DEP_1) | instskip(NEXT) | instid1(VALU_DEP_1)
	v_mul_hi_u32 v4, v3, v4
	v_add_nc_u32_e32 v3, v3, v4
	s_delay_alu instid0(VALU_DEP_1) | instskip(NEXT) | instid1(VALU_DEP_1)
	v_mul_hi_u32 v3, v9, v3
	v_mul_lo_u32 v4, v3, s28
	v_add_nc_u32_e32 v8, 1, v3
	s_delay_alu instid0(VALU_DEP_2) | instskip(NEXT) | instid1(VALU_DEP_1)
	v_sub_nc_u32_e32 v4, v9, v4
	v_subrev_nc_u32_e32 v11, s28, v4
	v_cmp_le_u32_e32 vcc_lo, s28, v4
	s_wait_alu 0xfffd
	s_delay_alu instid0(VALU_DEP_2) | instskip(NEXT) | instid1(VALU_DEP_1)
	v_dual_cndmask_b32 v4, v4, v11 :: v_dual_cndmask_b32 v3, v3, v8
	v_cmp_le_u32_e32 vcc_lo, s28, v4
	s_delay_alu instid0(VALU_DEP_2) | instskip(SKIP_2) | instid1(VALU_DEP_2)
	v_add_nc_u32_e32 v8, 1, v3
	v_mov_b32_e32 v4, v7
	s_wait_alu 0xfffd
	v_cndmask_b32_e32 v3, v3, v8, vcc_lo
.LBB0_6:                                ;   in Loop: Header=BB0_2 Depth=1
	s_wait_alu 0xfffe
	s_or_b32 exec_lo, exec_lo, s2
	v_mul_lo_u32 v8, v4, s28
	s_delay_alu instid0(VALU_DEP_2)
	v_mul_lo_u32 v13, v3, s29
	s_load_b64 s[30:31], s[22:23], 0x0
	v_mad_co_u64_u32 v[11:12], null, v3, s28, 0
	s_load_b64 s[28:29], s[20:21], 0x0
	s_add_nc_u64 s[24:25], s[24:25], 1
	s_add_nc_u64 s[20:21], s[20:21], 8
	s_wait_alu 0xfffe
	v_cmp_ge_u64_e64 s2, s[24:25], s[6:7]
	s_add_nc_u64 s[22:23], s[22:23], 8
	s_add_nc_u64 s[26:27], s[26:27], 8
	v_add3_u32 v8, v12, v13, v8
	v_sub_co_u32 v9, vcc_lo, v9, v11
	s_wait_alu 0xfffd
	s_delay_alu instid0(VALU_DEP_2) | instskip(SKIP_2) | instid1(VALU_DEP_1)
	v_sub_co_ci_u32_e32 v8, vcc_lo, v10, v8, vcc_lo
	s_and_b32 vcc_lo, exec_lo, s2
	s_wait_kmcnt 0x0
	v_mul_lo_u32 v10, s30, v8
	v_mul_lo_u32 v11, s31, v9
	v_mad_co_u64_u32 v[5:6], null, s30, v9, v[5:6]
	v_mul_lo_u32 v8, s28, v8
	v_mul_lo_u32 v12, s29, v9
	v_mad_co_u64_u32 v[1:2], null, s28, v9, v[1:2]
	s_delay_alu instid0(VALU_DEP_4) | instskip(NEXT) | instid1(VALU_DEP_2)
	v_add3_u32 v6, v11, v6, v10
	v_add3_u32 v2, v12, v2, v8
	s_wait_alu 0xfffe
	s_cbranch_vccnz .LBB0_9
; %bb.7:                                ;   in Loop: Header=BB0_2 Depth=1
	v_dual_mov_b32 v10, v4 :: v_dual_mov_b32 v9, v3
	s_branch .LBB0_2
.LBB0_8:
	v_dual_mov_b32 v1, v5 :: v_dual_mov_b32 v2, v6
	s_delay_alu instid0(VALU_DEP_2)
	v_dual_mov_b32 v3, v9 :: v_dual_mov_b32 v4, v10
.LBB0_9:
	s_load_b64 s[0:1], s[0:1], 0x28
	v_mul_hi_u32 v11, 0x4924925, v0
	s_lshl_b64 s[6:7], s[6:7], 3
                                        ; implicit-def: $sgpr2_sgpr3
                                        ; implicit-def: $vgpr31
                                        ; implicit-def: $vgpr32
                                        ; implicit-def: $vgpr33
                                        ; implicit-def: $vgpr34
                                        ; implicit-def: $vgpr36
                                        ; implicit-def: $vgpr35
	s_wait_kmcnt 0x0
	v_cmp_gt_u64_e32 vcc_lo, s[0:1], v[3:4]
	v_cmp_le_u64_e64 s0, s[0:1], v[3:4]
	s_delay_alu instid0(VALU_DEP_1)
	s_and_saveexec_b32 s1, s0
	s_wait_alu 0xfffe
	s_xor_b32 s0, exec_lo, s1
; %bb.10:
	v_mul_u32_u24_e32 v5, 56, v11
	s_mov_b64 s[2:3], 0
                                        ; implicit-def: $vgpr11
	s_delay_alu instid0(VALU_DEP_1) | instskip(NEXT) | instid1(VALU_DEP_1)
	v_sub_nc_u32_e32 v31, v0, v5
                                        ; implicit-def: $vgpr0
                                        ; implicit-def: $vgpr5_vgpr6
	v_add_nc_u32_e32 v32, 56, v31
	v_add_nc_u32_e32 v33, 0x70, v31
	;; [unrolled: 1-line block ×5, first 2 shown]
; %bb.11:
	s_wait_alu 0xfffe
	s_or_saveexec_b32 s1, s0
	v_dual_mov_b32 v8, s3 :: v_dual_mov_b32 v7, s2
	v_dual_mov_b32 v10, s3 :: v_dual_mov_b32 v9, s2
	;; [unrolled: 1-line block ×6, first 2 shown]
	s_add_nc_u64 s[2:3], s[14:15], s[6:7]
                                        ; implicit-def: $vgpr12
                                        ; implicit-def: $vgpr28
                                        ; implicit-def: $vgpr24
                                        ; implicit-def: $vgpr26
                                        ; implicit-def: $vgpr30
                                        ; implicit-def: $vgpr14
	s_wait_alu 0xfffe
	s_xor_b32 exec_lo, exec_lo, s1
	s_cbranch_execz .LBB0_13
; %bb.12:
	s_add_nc_u64 s[6:7], s[12:13], s[6:7]
	v_mul_u32_u24_e32 v7, 56, v11
	s_load_b64 s[6:7], s[6:7], 0x0
	v_lshlrev_b64_e32 v[5:6], 3, v[5:6]
	s_delay_alu instid0(VALU_DEP_2) | instskip(NEXT) | instid1(VALU_DEP_1)
	v_sub_nc_u32_e32 v31, v0, v7
	v_mad_co_u64_u32 v[7:8], null, s18, v31, 0
	v_add_nc_u32_e32 v19, 0x150, v31
	v_add_nc_u32_e32 v32, 56, v31
	v_or_b32_e32 v23, 0x1c0, v31
	v_add_nc_u32_e32 v34, 0xa8, v31
	v_add_nc_u32_e32 v36, 0xe0, v31
	v_dual_mov_b32 v0, v8 :: v_dual_add_nc_u32 v35, 0x118, v31
	v_mad_co_u64_u32 v[9:10], null, s18, v19, 0
	v_add_nc_u32_e32 v21, 0x188, v31
	s_wait_kmcnt 0x0
	v_mul_lo_u32 v8, s7, v3
	v_mul_lo_u32 v20, s6, v4
	v_mad_co_u64_u32 v[15:16], null, s6, v3, 0
	v_mad_co_u64_u32 v[11:12], null, s18, v32, 0
	;; [unrolled: 1-line block ×3, first 2 shown]
	v_mov_b32_e32 v0, v10
	v_mad_co_u64_u32 v[13:14], null, s18, v21, 0
	v_add3_u32 v16, v16, v20, v8
	v_dual_mov_b32 v10, v12 :: v_dual_add_nc_u32 v33, 0x70, v31
	s_delay_alu instid0(VALU_DEP_4) | instskip(SKIP_4) | instid1(VALU_DEP_4)
	v_mad_co_u64_u32 v[18:19], null, s19, v19, v[0:1]
	v_mov_b32_e32 v8, v17
	v_mov_b32_e32 v12, v14
	v_lshlrev_b64_e32 v[14:15], 3, v[15:16]
	v_mad_co_u64_u32 v[19:20], null, s19, v32, v[10:11]
	v_lshlrev_b64_e32 v[7:8], 3, v[7:8]
	s_delay_alu instid0(VALU_DEP_4)
	v_mad_co_u64_u32 v[16:17], null, s19, v21, v[12:13]
	v_mov_b32_e32 v10, v18
	v_mad_co_u64_u32 v[17:18], null, s18, v33, 0
	v_add_co_u32 v0, s0, s8, v14
	s_wait_alu 0xf1ff
	v_add_co_ci_u32_e64 v14, s0, s9, v15, s0
	v_mov_b32_e32 v12, v19
	s_delay_alu instid0(VALU_DEP_3) | instskip(SKIP_1) | instid1(VALU_DEP_3)
	v_add_co_u32 v30, s0, v0, v5
	s_wait_alu 0xf1ff
	v_add_co_ci_u32_e64 v43, s0, v14, v6, s0
	v_lshlrev_b64_e32 v[5:6], 3, v[9:10]
	v_mov_b32_e32 v14, v16
	v_mov_b32_e32 v0, v18
	v_mad_co_u64_u32 v[15:16], null, s18, v23, 0
	v_add_co_u32 v7, s0, v30, v7
	v_lshlrev_b64_e32 v[9:10], 3, v[11:12]
	s_wait_alu 0xf1ff
	v_add_co_ci_u32_e64 v8, s0, v43, v8, s0
	v_lshlrev_b64_e32 v[11:12], 3, v[13:14]
	v_mad_co_u64_u32 v[13:14], null, s19, v33, v[0:1]
	v_mad_co_u64_u32 v[21:22], null, s18, v34, 0
	v_add_co_u32 v5, s0, v30, v5
	s_wait_alu 0xf1ff
	v_add_co_ci_u32_e64 v6, s0, v43, v6, s0
	v_mov_b32_e32 v0, v16
	v_add_co_u32 v9, s0, v30, v9
	s_wait_alu 0xf1ff
	v_add_co_ci_u32_e64 v10, s0, v43, v10, s0
	v_add_co_u32 v19, s0, v30, v11
	v_mov_b32_e32 v18, v13
	v_mad_co_u64_u32 v[23:24], null, s19, v23, v[0:1]
	v_mov_b32_e32 v0, v22
	s_wait_alu 0xf1ff
	v_add_co_ci_u32_e64 v20, s0, v43, v12, s0
	s_clause 0x3
	global_load_b64 v[7:8], v[7:8], off
	global_load_b64 v[11:12], v[5:6], off
	;; [unrolled: 1-line block ×4, first 2 shown]
	v_add_nc_u32_e32 v20, 0x1f8, v31
	v_lshlrev_b64_e32 v[5:6], 3, v[17:18]
	v_mad_co_u64_u32 v[17:18], null, s19, v34, v[0:1]
	v_mov_b32_e32 v16, v23
	s_delay_alu instid0(VALU_DEP_4) | instskip(SKIP_1) | instid1(VALU_DEP_3)
	v_mad_co_u64_u32 v[18:19], null, s18, v20, 0
	v_mad_co_u64_u32 v[23:24], null, s18, v36, 0
	v_lshlrev_b64_e32 v[15:16], 3, v[15:16]
	v_dual_mov_b32 v22, v17 :: v_dual_add_nc_u32 v17, 0x230, v31
	v_add_co_u32 v5, s0, v30, v5
	v_mov_b32_e32 v0, v19
	s_wait_alu 0xf1ff
	v_add_co_ci_u32_e64 v6, s0, v43, v6, s0
	v_mad_co_u64_u32 v[25:26], null, s18, v17, 0
	s_delay_alu instid0(VALU_DEP_3) | instskip(SKIP_4) | instid1(VALU_DEP_4)
	v_mad_co_u64_u32 v[19:20], null, s19, v20, v[0:1]
	v_mov_b32_e32 v0, v24
	v_lshlrev_b64_e32 v[20:21], 3, v[21:22]
	v_add_nc_u32_e32 v22, 0x268, v31
	v_add_co_u32 v15, s0, v30, v15
	v_mad_co_u64_u32 v[27:28], null, s19, v36, v[0:1]
	v_mov_b32_e32 v0, v26
	v_mad_co_u64_u32 v[28:29], null, s18, v35, 0
	s_wait_alu 0xf1ff
	v_add_co_ci_u32_e64 v16, s0, v43, v16, s0
	s_delay_alu instid0(VALU_DEP_3) | instskip(SKIP_1) | instid1(VALU_DEP_4)
	v_mad_co_u64_u32 v[37:38], null, s19, v17, v[0:1]
	v_mad_co_u64_u32 v[38:39], null, s18, v22, 0
	v_mov_b32_e32 v0, v29
	v_add_co_u32 v40, s0, v30, v20
	v_lshlrev_b64_e32 v[17:18], 3, v[18:19]
	v_mov_b32_e32 v24, v27
	s_delay_alu instid0(VALU_DEP_4)
	v_mad_co_u64_u32 v[19:20], null, s19, v35, v[0:1]
	v_mov_b32_e32 v0, v39
	s_wait_alu 0xf1ff
	v_add_co_ci_u32_e64 v41, s0, v43, v21, s0
	v_lshlrev_b64_e32 v[20:21], 3, v[23:24]
	v_mov_b32_e32 v26, v37
	v_mad_co_u64_u32 v[22:23], null, s19, v22, v[0:1]
	v_mov_b32_e32 v29, v19
	v_add_co_u32 v17, s0, v30, v17
	s_delay_alu instid0(VALU_DEP_4)
	v_lshlrev_b64_e32 v[23:24], 3, v[25:26]
	s_wait_alu 0xf1ff
	v_add_co_ci_u32_e64 v18, s0, v43, v18, s0
	v_mov_b32_e32 v39, v22
	v_add_co_u32 v25, s0, v30, v20
	v_lshlrev_b64_e32 v[19:20], 3, v[28:29]
	s_wait_alu 0xf1ff
	v_add_co_ci_u32_e64 v26, s0, v43, v21, s0
	v_add_co_u32 v23, s0, v30, v23
	v_lshlrev_b64_e32 v[21:22], 3, v[38:39]
	s_wait_alu 0xf1ff
	v_add_co_ci_u32_e64 v24, s0, v43, v24, s0
	v_add_co_u32 v37, s0, v30, v19
	s_wait_alu 0xf1ff
	v_add_co_ci_u32_e64 v38, s0, v43, v20, s0
	v_add_co_u32 v42, s0, v30, v21
	s_wait_alu 0xf1ff
	v_add_co_ci_u32_e64 v43, s0, v43, v22, s0
	s_clause 0x7
	global_load_b64 v[19:20], v[5:6], off
	global_load_b64 v[29:30], v[15:16], off
	global_load_b64 v[21:22], v[40:41], off
	global_load_b64 v[27:28], v[17:18], off
	global_load_b64 v[15:16], v[25:26], off
	global_load_b64 v[23:24], v[23:24], off
	global_load_b64 v[17:18], v[37:38], off
	global_load_b64 v[25:26], v[42:43], off
.LBB0_13:
	s_or_b32 exec_lo, exec_lo, s1
	s_wait_loadcnt 0x2
	v_dual_sub_f32 v38, v8, v12 :: v_dual_sub_f32 v23, v15, v23
	v_sub_f32_e32 v6, v7, v11
	v_lshlrev_b32_e32 v0, 2, v31
	v_sub_f32_e32 v12, v9, v13
	s_delay_alu instid0(VALU_DEP_4)
	v_fma_f32 v37, v8, 2.0, -v38
	v_dual_sub_f32 v8, v19, v29 :: v_dual_sub_f32 v29, v20, v30
	v_lshl_add_u32 v30, v31, 3, 0
	v_fma_f32 v5, v7, 2.0, -v6
	v_sub_f32_e32 v42, v22, v28
	s_wait_loadcnt 0x0
	v_dual_sub_f32 v40, v10, v14 :: v_dual_sub_f32 v25, v17, v25
	v_fma_f32 v28, v20, 2.0, -v29
	v_sub_f32_e32 v20, v16, v24
	v_sub_nc_u32_e32 v0, v30, v0
	v_dual_sub_f32 v14, v21, v27 :: v_dual_sub_f32 v27, v18, v26
	v_fma_f32 v11, v9, 2.0, -v12
	v_lshl_add_u32 v9, v32, 3, 0
	s_load_b64 s[2:3], s[2:3], 0x0
	ds_store_b64 v30, v[5:6]
	ds_store_b64 v9, v[11:12]
	v_lshlrev_b32_e32 v5, 2, v33
	v_fma_f32 v41, v22, 2.0, -v42
	v_fma_f32 v22, v15, 2.0, -v23
	v_add_nc_u32_e32 v15, 0x400, v0
	v_fma_f32 v7, v19, 2.0, -v8
	v_fma_f32 v19, v16, 2.0, -v20
	v_lshl_add_u32 v16, v33, 3, 0
	v_fma_f32 v13, v21, 2.0, -v14
	v_fma_f32 v24, v17, 2.0, -v25
	v_lshl_add_u32 v17, v34, 3, 0
	ds_store_b64 v16, v[7:8]
	ds_store_b64 v17, v[13:14]
	v_lshlrev_b32_e32 v13, 2, v32
	v_sub_nc_u32_e32 v7, v16, v5
	v_lshlrev_b32_e32 v5, 2, v34
	v_fma_f32 v26, v18, 2.0, -v27
	v_lshl_add_u32 v18, v36, 3, 0
	v_lshlrev_b32_e32 v8, 2, v36
	v_lshl_add_u32 v45, v35, 3, 0
	v_add_nc_u32_e32 v12, 0x800, v0
	v_lshlrev_b32_e32 v14, 2, v35
	v_fma_f32 v39, v10, 2.0, -v40
	v_sub_nc_u32_e32 v6, v9, v13
	v_sub_nc_u32_e32 v10, v17, v5
	;; [unrolled: 1-line block ×3, first 2 shown]
	ds_store_b64 v18, v[22:23]
	ds_store_b64 v45, v[24:25]
	global_wb scope:SCOPE_SE
	s_wait_dscnt 0x0
	s_wait_kmcnt 0x0
	s_barrier_signal -1
	s_barrier_wait -1
	global_inv scope:SCOPE_SE
	ds_load_2addr_b32 v[21:22], v15 offset0:80 offset1:136
	ds_load_2addr_b32 v[23:24], v15 offset0:192 offset1:248
	;; [unrolled: 1-line block ×3, first 2 shown]
	v_sub_nc_u32_e32 v5, v45, v14
	ds_load_b32 v46, v0
	ds_load_b32 v47, v6
	;; [unrolled: 1-line block ×6, first 2 shown]
	global_wb scope:SCOPE_SE
	s_wait_dscnt 0x0
	s_barrier_signal -1
	s_barrier_wait -1
	global_inv scope:SCOPE_SE
	ds_store_b64 v30, v[37:38]
	ds_store_b64 v9, v[39:40]
	v_and_b32_e32 v30, 1, v31
	ds_store_b64 v16, v[28:29]
	ds_store_b64 v17, v[41:42]
	;; [unrolled: 1-line block ×4, first 2 shown]
	global_wb scope:SCOPE_SE
	s_wait_dscnt 0x0
	s_barrier_signal -1
	s_barrier_wait -1
	v_lshlrev_b32_e32 v8, 3, v30
	global_inv scope:SCOPE_SE
	ds_load_2addr_b32 v[27:28], v15 offset0:80 offset1:136
	v_lshlrev_b32_e32 v14, 1, v32
	v_lshlrev_b32_e32 v18, 1, v36
	global_load_b64 v[25:26], v8, s[4:5]
	v_lshlrev_b32_e32 v19, 1, v35
	v_lshlrev_b32_e32 v8, 1, v31
	v_and_or_b32 v29, 0xfc, v14, v30
	v_and_or_b32 v39, 0x3fc, v18, v30
	v_sub_nc_u32_e32 v13, 0, v13
	v_cmp_gt_u32_e64 s0, 40, v31
	v_and_or_b32 v20, 0x7c, v8, v30
	v_lshl_add_u32 v45, v29, 2, 0
	v_lshl_add_u32 v39, v39, 2, 0
	s_delay_alu instid0(VALU_DEP_3)
	v_lshl_add_u32 v42, v20, 2, 0
	s_wait_loadcnt 0x0
	v_mul_f32_e32 v60, v21, v26
	v_lshlrev_b32_e32 v17, 1, v34
	v_and_or_b32 v40, 0x2fc, v19, v30
	s_wait_dscnt 0x0
	v_mul_f32_e32 v59, v27, v26
	v_dual_mul_f32 v61, v28, v26 :: v_dual_fmac_f32 v60, v27, v25
	v_lshlrev_b32_e32 v16, 1, v33
	v_and_or_b32 v37, 0x1fc, v17, v30
	v_mul_f32_e32 v62, v22, v26
	v_mul_f32_e32 v68, v43, v26
	v_fma_f32 v21, v21, v25, -v59
	v_and_or_b32 v36, 0x1fc, v16, v30
	ds_load_2addr_b32 v[29:30], v15 offset0:192 offset1:248
	v_lshl_add_u32 v53, v37, 2, 0
	v_fma_f32 v22, v22, v25, -v61
	v_mul_f32_e32 v66, v24, v26
	v_lshl_add_u32 v52, v36, 2, 0
	v_fmac_f32_e32 v62, v28, v25
	s_delay_alu instid0(VALU_DEP_4)
	v_dual_sub_f32 v21, v46, v21 :: v_dual_sub_f32 v22, v47, v22
	v_lshl_add_u32 v40, v40, 2, 0
	s_wait_dscnt 0x0
	v_mul_f32_e32 v63, v29, v26
	ds_load_2addr_b32 v[36:37], v12 offset0:48 offset1:104
	ds_load_b32 v20, v0
	ds_load_b32 v54, v6
	ds_load_b32 v55, v7
	ds_load_b32 v56, v10
	ds_load_b32 v57, v11
	ds_load_b32 v58, v5
	v_mul_f32_e32 v65, v30, v26
	v_fmac_f32_e32 v66, v30, v25
	global_wb scope:SCOPE_SE
	s_wait_dscnt 0x0
	s_barrier_signal -1
	s_barrier_wait -1
	v_fma_f32 v24, v24, v25, -v65
	global_inv scope:SCOPE_SE
	v_sub_f32_e32 v24, v49, v24
	s_delay_alu instid0(VALU_DEP_1) | instskip(SKIP_3) | instid1(VALU_DEP_3)
	v_fma_f32 v49, v49, 2.0, -v24
	v_mul_f32_e32 v67, v36, v26
	v_dual_mul_f32 v69, v37, v26 :: v_dual_fmac_f32 v68, v36, v25
	v_and_b32_e32 v38, 3, v31
	v_fma_f32 v27, v43, v25, -v67
	v_mul_f32_e32 v64, v23, v26
	v_fma_f32 v23, v23, v25, -v63
	v_mul_f32_e32 v26, v44, v26
	v_fma_f32 v28, v44, v25, -v69
	v_fma_f32 v43, v46, 2.0, -v21
	v_dual_fmac_f32 v64, v29, v25 :: v_dual_sub_f32 v29, v20, v60
	s_delay_alu instid0(VALU_DEP_4) | instskip(NEXT) | instid1(VALU_DEP_4)
	v_dual_sub_f32 v23, v48, v23 :: v_dual_fmac_f32 v26, v37, v25
	v_dual_sub_f32 v25, v50, v27 :: v_dual_sub_f32 v28, v51, v28
	s_delay_alu instid0(VALU_DEP_3)
	v_sub_f32_e32 v36, v55, v64
	v_sub_f32_e32 v27, v57, v68
	v_lshlrev_b32_e32 v41, 3, v38
	v_fma_f32 v44, v20, 2.0, -v29
	v_fma_f32 v20, v47, 2.0, -v22
	;; [unrolled: 1-line block ×7, first 2 shown]
	ds_store_2addr_b32 v42, v43, v21 offset1:2
	ds_store_2addr_b32 v45, v20, v22 offset1:2
	;; [unrolled: 1-line block ×6, first 2 shown]
	global_wb scope:SCOPE_SE
	s_wait_dscnt 0x0
	s_barrier_signal -1
	s_barrier_wait -1
	global_inv scope:SCOPE_SE
	ds_load_2addr_b32 v[20:21], v15 offset0:80 offset1:136
	ds_load_2addr_b32 v[22:23], v15 offset0:192 offset1:248
	;; [unrolled: 1-line block ×3, first 2 shown]
	ds_load_b32 v43, v0
	ds_load_b32 v47, v6
	;; [unrolled: 1-line block ×6, first 2 shown]
	v_sub_f32_e32 v30, v54, v62
	v_sub_f32_e32 v37, v56, v66
	;; [unrolled: 1-line block ×3, first 2 shown]
	global_wb scope:SCOPE_SE
	s_wait_dscnt 0x0
	s_barrier_signal -1
	v_fma_f32 v46, v54, 2.0, -v30
	v_fma_f32 v54, v56, 2.0, -v37
	;; [unrolled: 1-line block ×3, first 2 shown]
	s_barrier_wait -1
	global_inv scope:SCOPE_SE
	ds_store_2addr_b32 v42, v44, v29 offset1:2
	ds_store_2addr_b32 v45, v46, v30 offset1:2
	;; [unrolled: 1-line block ×6, first 2 shown]
	global_wb scope:SCOPE_SE
	s_wait_dscnt 0x0
	s_barrier_signal -1
	s_barrier_wait -1
	global_inv scope:SCOPE_SE
	global_load_b64 v[26:27], v41, s[4:5] offset:16
	v_and_or_b32 v36, 0x78, v8, v38
	v_and_or_b32 v37, 0xf8, v14, v38
	v_and_or_b32 v39, 0x1f8, v16, v38
	ds_load_2addr_b32 v[28:29], v15 offset0:80 offset1:136
	v_and_or_b32 v40, 0x1f8, v17, v38
	v_lshl_add_u32 v45, v36, 2, 0
	v_lshl_add_u32 v46, v37, 2, 0
	ds_load_2addr_b32 v[36:37], v15 offset0:192 offset1:248
	v_and_or_b32 v41, 0x3f8, v18, v38
	v_and_or_b32 v42, 0x2f8, v19, v38
	v_lshl_add_u32 v48, v39, 2, 0
	ds_load_2addr_b32 v[38:39], v12 offset0:48 offset1:104
	ds_load_b32 v52, v0
	ds_load_b32 v53, v6
	;; [unrolled: 1-line block ×6, first 2 shown]
	v_lshl_add_u32 v40, v40, 2, 0
	v_lshl_add_u32 v41, v41, 2, 0
	;; [unrolled: 1-line block ×3, first 2 shown]
	global_wb scope:SCOPE_SE
	s_wait_loadcnt_dscnt 0x0
	s_barrier_signal -1
	s_barrier_wait -1
	global_inv scope:SCOPE_SE
	v_mul_f32_e32 v59, v28, v27
	v_mul_f32_e32 v61, v29, v27
	;; [unrolled: 1-line block ×9, first 2 shown]
	v_fma_f32 v20, v20, v26, -v59
	v_fma_f32 v21, v21, v26, -v61
	v_mul_f32_e32 v64, v22, v27
	v_fma_f32 v22, v22, v26, -v63
	v_fma_f32 v23, v23, v26, -v65
	v_mul_f32_e32 v68, v24, v27
	v_mul_f32_e32 v27, v25, v27
	v_fmac_f32_e32 v62, v29, v26
	v_fmac_f32_e32 v66, v37, v26
	v_fma_f32 v24, v24, v26, -v67
	v_fma_f32 v25, v25, v26, -v69
	v_sub_f32_e32 v20, v43, v20
	v_dual_sub_f32 v21, v47, v21 :: v_dual_sub_f32 v22, v49, v22
	v_dual_sub_f32 v23, v50, v23 :: v_dual_fmac_f32 v60, v28, v26
	v_fmac_f32_e32 v64, v36, v26
	v_sub_f32_e32 v28, v53, v62
	v_sub_f32_e32 v36, v55, v66
	v_dual_sub_f32 v24, v51, v24 :: v_dual_sub_f32 v25, v57, v25
	v_fmac_f32_e32 v68, v38, v26
	v_fma_f32 v38, v43, 2.0, -v20
	v_fma_f32 v43, v47, 2.0, -v21
	;; [unrolled: 1-line block ×8, first 2 shown]
	v_fmac_f32_e32 v27, v39, v26
	ds_store_2addr_b32 v45, v38, v20 offset1:4
	ds_store_2addr_b32 v46, v43, v21 offset1:4
	;; [unrolled: 1-line block ×6, first 2 shown]
	global_wb scope:SCOPE_SE
	s_wait_dscnt 0x0
	s_barrier_signal -1
	s_barrier_wait -1
	global_inv scope:SCOPE_SE
	ds_load_2addr_b32 v[20:21], v15 offset0:80 offset1:136
	ds_load_2addr_b32 v[22:23], v15 offset0:192 offset1:248
	;; [unrolled: 1-line block ×3, first 2 shown]
	ds_load_b32 v43, v0
	ds_load_b32 v49, v6
	;; [unrolled: 1-line block ×6, first 2 shown]
	v_sub_f32_e32 v26, v52, v60
	v_sub_f32_e32 v29, v54, v64
	;; [unrolled: 1-line block ×4, first 2 shown]
	global_wb scope:SCOPE_SE
	s_wait_dscnt 0x0
	v_fma_f32 v39, v52, 2.0, -v26
	v_fma_f32 v52, v54, 2.0, -v29
	;; [unrolled: 1-line block ×4, first 2 shown]
	s_barrier_signal -1
	s_barrier_wait -1
	global_inv scope:SCOPE_SE
	ds_store_2addr_b32 v45, v39, v26 offset1:4
	ds_store_2addr_b32 v46, v47, v28 offset1:4
	;; [unrolled: 1-line block ×6, first 2 shown]
	global_wb scope:SCOPE_SE
	s_wait_dscnt 0x0
	s_barrier_signal -1
	s_barrier_wait -1
	global_inv scope:SCOPE_SE
	ds_load_2addr_b32 v[28:29], v15 offset0:80 offset1:136
	v_and_b32_e32 v30, 7, v31
	v_and_b32_e32 v42, 15, v35
	;; [unrolled: 1-line block ×4, first 2 shown]
	s_delay_alu instid0(VALU_DEP_4) | instskip(NEXT) | instid1(VALU_DEP_3)
	v_lshlrev_b32_e32 v44, 3, v30
	v_lshlrev_b32_e32 v45, 3, v39
	global_load_b64 v[26:27], v44, s[4:5] offset:48
	s_wait_loadcnt 0x0
	v_mul_f32_e32 v63, v20, v27
	s_wait_dscnt 0x0
	v_mul_f32_e32 v62, v28, v27
	v_mul_f32_e32 v64, v29, v27
	;; [unrolled: 1-line block ×4, first 2 shown]
	v_fmac_f32_e32 v63, v28, v26
	v_and_or_b32 v35, 0x70, v8, v30
	v_and_or_b32 v36, 0xf0, v14, v30
	;; [unrolled: 1-line block ×4, first 2 shown]
	v_mul_f32_e32 v69, v23, v27
	v_lshl_add_u32 v47, v35, 2, 0
	v_lshl_add_u32 v48, v36, 2, 0
	ds_load_2addr_b32 v[35:36], v15 offset0:192 offset1:248
	v_lshl_add_u32 v52, v37, 2, 0
	v_lshl_add_u32 v53, v38, 2, 0
	ds_load_2addr_b32 v[37:38], v12 offset0:48 offset1:104
	ds_load_b32 v54, v0
	ds_load_b32 v56, v6
	;; [unrolled: 1-line block ×6, first 2 shown]
	v_mul_f32_e32 v71, v24, v27
	v_fma_f32 v20, v20, v26, -v62
	v_fma_f32 v21, v21, v26, -v64
	v_fmac_f32_e32 v65, v29, v26
	v_and_or_b32 v44, 0x3f0, v18, v30
	v_and_or_b32 v30, 0x2f0, v19, v30
	s_delay_alu instid0(VALU_DEP_4)
	v_dual_sub_f32 v20, v43, v20 :: v_dual_sub_f32 v21, v49, v21
	global_wb scope:SCOPE_SE
	s_wait_dscnt 0x0
	v_lshl_add_u32 v44, v44, 2, 0
	v_lshl_add_u32 v30, v30, 2, 0
	s_barrier_signal -1
	s_barrier_wait -1
	global_inv scope:SCOPE_SE
	v_and_or_b32 v8, 0x60, v8, v39
	v_mul_f32_e32 v66, v35, v27
	v_dual_mul_f32 v68, v36, v27 :: v_dual_fmac_f32 v67, v35, v26
	v_mul_f32_e32 v70, v37, v27
	v_mul_f32_e32 v72, v38, v27
	;; [unrolled: 1-line block ×3, first 2 shown]
	v_fma_f32 v22, v22, v26, -v66
	v_fma_f32 v23, v23, v26, -v68
	v_fmac_f32_e32 v69, v36, v26
	v_fma_f32 v24, v24, v26, -v70
	v_fmac_f32_e32 v71, v37, v26
	v_fma_f32 v25, v25, v26, -v72
	s_delay_alu instid0(VALU_DEP_4)
	v_dual_sub_f32 v35, v59, v69 :: v_dual_and_b32 v40, 15, v32
	v_fmac_f32_e32 v27, v38, v26
	v_sub_f32_e32 v26, v54, v63
	v_sub_f32_e32 v28, v56, v65
	v_sub_f32_e32 v22, v50, v22
	v_sub_f32_e32 v29, v58, v67
	v_sub_f32_e32 v23, v51, v23
	v_sub_f32_e32 v24, v55, v24
	v_dual_sub_f32 v36, v60, v71 :: v_dual_sub_f32 v25, v57, v25
	v_dual_sub_f32 v27, v61, v27 :: v_dual_lshlrev_b32 v46, 3, v40
	v_fma_f32 v37, v43, 2.0, -v20
	v_fma_f32 v38, v54, 2.0, -v26
	;; [unrolled: 1-line block ×12, first 2 shown]
	ds_store_2addr_b32 v47, v37, v20 offset1:8
	ds_store_2addr_b32 v48, v43, v21 offset1:8
	;; [unrolled: 1-line block ×6, first 2 shown]
	global_wb scope:SCOPE_SE
	s_wait_dscnt 0x0
	s_barrier_signal -1
	s_barrier_wait -1
	global_inv scope:SCOPE_SE
	ds_load_2addr_b32 v[20:21], v15 offset0:80 offset1:136
	ds_load_2addr_b32 v[22:23], v15 offset0:192 offset1:248
	;; [unrolled: 1-line block ×3, first 2 shown]
	ds_load_b32 v43, v0
	ds_load_b32 v50, v6
	;; [unrolled: 1-line block ×6, first 2 shown]
	global_wb scope:SCOPE_SE
	s_wait_dscnt 0x0
	s_barrier_signal -1
	s_barrier_wait -1
	global_inv scope:SCOPE_SE
	ds_store_2addr_b32 v47, v38, v26 offset1:8
	ds_store_2addr_b32 v48, v49, v28 offset1:8
	;; [unrolled: 1-line block ×6, first 2 shown]
	global_wb scope:SCOPE_SE
	s_wait_dscnt 0x0
	s_barrier_signal -1
	s_barrier_wait -1
	global_inv scope:SCOPE_SE
	s_clause 0x1
	global_load_b64 v[26:27], v45, s[4:5] offset:112
	global_load_b64 v[28:29], v46, s[4:5] offset:112
	v_lshlrev_b32_e32 v30, 3, v41
	v_lshlrev_b32_e32 v37, 3, v42
	s_clause 0x1
	global_load_b64 v[35:36], v30, s[4:5] offset:112
	global_load_b64 v[37:38], v37, s[4:5] offset:112
	v_and_or_b32 v14, 0xe0, v14, v40
	v_and_or_b32 v40, 0x1e0, v16, v39
	;; [unrolled: 1-line block ×5, first 2 shown]
	ds_load_2addr_b32 v[16:17], v15 offset0:80 offset1:136
	v_lshl_add_u32 v49, v40, 2, 0
	ds_load_2addr_b32 v[18:19], v15 offset0:192 offset1:248
	v_lshl_add_u32 v52, v39, 2, 0
	;; [unrolled: 2-line block ×3, first 2 shown]
	ds_load_b32 v8, v0
	ds_load_b32 v53, v6
	;; [unrolled: 1-line block ×6, first 2 shown]
	v_and_b32_e32 v44, 31, v32
	v_lshl_add_u32 v14, v14, 2, 0
	v_lshl_add_u32 v41, v41, 2, 0
	v_and_b32_e32 v45, 31, v33
	v_lshl_add_u32 v42, v42, 2, 0
	global_wb scope:SCOPE_SE
	s_wait_loadcnt_dscnt 0x0
	s_barrier_signal -1
	s_barrier_wait -1
	global_inv scope:SCOPE_SE
	v_mul_f32_e32 v59, v16, v27
	v_mul_f32_e32 v61, v20, v27
	;; [unrolled: 1-line block ×6, first 2 shown]
	v_fmac_f32_e32 v61, v16, v26
	v_dual_mul_f32 v68, v40, v38 :: v_dual_mul_f32 v65, v19, v36
	v_mul_f32_e32 v36, v23, v36
	s_delay_alu instid0(VALU_DEP_4) | instskip(SKIP_3) | instid1(VALU_DEP_4)
	v_dual_fmac_f32 v27, v39, v26 :: v_dual_mul_f32 v62, v17, v29
	v_mul_f32_e32 v29, v21, v29
	v_mul_f32_e32 v38, v25, v38
	v_fma_f32 v20, v20, v26, -v59
	v_sub_f32_e32 v27, v58, v27
	v_fma_f32 v16, v21, v28, -v62
	v_fma_f32 v21, v25, v37, -v68
	v_fmac_f32_e32 v29, v17, v28
	v_fma_f32 v17, v22, v26, -v63
	v_and_b32_e32 v30, 31, v31
	s_delay_alu instid0(VALU_DEP_4)
	v_dual_fmac_f32 v36, v19, v35 :: v_dual_sub_f32 v21, v60, v21
	v_fmac_f32_e32 v64, v18, v26
	v_fma_f32 v18, v23, v35, -v65
	v_fma_f32 v19, v24, v26, -v67
	v_fmac_f32_e32 v38, v40, v37
	v_dual_sub_f32 v20, v43, v20 :: v_dual_sub_f32 v23, v8, v61
	v_sub_f32_e32 v16, v50, v16
	v_sub_f32_e32 v24, v53, v29
	v_dual_sub_f32 v17, v51, v17 :: v_dual_lshlrev_b32 v46, 4, v30
	v_dual_sub_f32 v25, v54, v64 :: v_dual_sub_f32 v18, v55, v18
	v_sub_f32_e32 v26, v56, v36
	v_dual_sub_f32 v19, v57, v19 :: v_dual_add_nc_u32 v66, 0x600, v0
	v_dual_sub_f32 v28, v5, v38 :: v_dual_lshlrev_b32 v47, 4, v44
	v_fma_f32 v22, v43, 2.0, -v20
	v_fma_f32 v29, v8, 2.0, -v23
	;; [unrolled: 1-line block ×12, first 2 shown]
	ds_store_2addr_b32 v48, v22, v20 offset1:16
	ds_store_2addr_b32 v14, v8, v16 offset1:16
	ds_store_2addr_b32 v49, v36, v17 offset1:16
	ds_store_2addr_b32 v41, v38, v18 offset1:16
	ds_store_2addr_b32 v52, v40, v19 offset1:16
	ds_store_2addr_b32 v42, v50, v21 offset1:16
	global_wb scope:SCOPE_SE
	s_wait_dscnt 0x0
	s_barrier_signal -1
	s_barrier_wait -1
	global_inv scope:SCOPE_SE
	ds_load_b32 v68, v0
	ds_load_2addr_b32 v[21:22], v15 offset0:136 offset1:192
	ds_load_2addr_b32 v[58:59], v15 offset0:24 offset1:80
	;; [unrolled: 1-line block ×3, first 2 shown]
	ds_load_b32 v5, v7
	ds_load_b32 v69, v11
	;; [unrolled: 1-line block ×4, first 2 shown]
	ds_load_b32 v71, v0 offset:2464
	global_wb scope:SCOPE_SE
	s_wait_dscnt 0x0
	s_barrier_signal -1
	s_barrier_wait -1
	global_inv scope:SCOPE_SE
	ds_store_2addr_b32 v48, v29, v23 offset1:16
	ds_store_2addr_b32 v14, v35, v24 offset1:16
	;; [unrolled: 1-line block ×6, first 2 shown]
	global_wb scope:SCOPE_SE
	s_wait_dscnt 0x0
	s_barrier_signal -1
	s_barrier_wait -1
	global_inv scope:SCOPE_SE
	s_clause 0x1
	global_load_b128 v[17:20], v46, s[4:5] offset:240
	global_load_b128 v[37:40], v47, s[4:5] offset:240
	v_and_b32_e32 v14, 31, v34
	v_lshlrev_b32_e32 v16, 4, v45
	v_lshrrev_b32_e32 v24, 5, v33
	v_lshrrev_b32_e32 v25, 5, v34
	s_delay_alu instid0(VALU_DEP_4)
	v_lshlrev_b32_e32 v23, 4, v14
	s_clause 0x1
	global_load_b128 v[50:53], v16, s[4:5] offset:240
	global_load_b128 v[54:57], v23, s[4:5] offset:240
	v_lshrrev_b32_e32 v23, 5, v32
	v_mul_lo_u32 v24, 0x60, v24
	ds_load_b32 v29, v11
	ds_load_2addr_b32 v[64:65], v15 offset0:24 offset1:80
	ds_load_2addr_b32 v[62:63], v15 offset0:136 offset1:192
	v_mul_lo_u32 v23, 0x60, v23
	ds_load_2addr_b32 v[66:67], v66 offset0:120 offset1:176
	v_lshrrev_b32_e32 v16, 5, v31
	v_mul_lo_u32 v25, 0x60, v25
	s_delay_alu instid0(VALU_DEP_2) | instskip(SKIP_2) | instid1(VALU_DEP_4)
	v_mul_u32_u24_e32 v16, 0x60, v16
	v_or_b32_e32 v11, v23, v44
	v_or_b32_e32 v23, v24, v45
	;; [unrolled: 1-line block ×3, first 2 shown]
	s_delay_alu instid0(VALU_DEP_4) | instskip(NEXT) | instid1(VALU_DEP_4)
	v_or_b32_e32 v26, v16, v30
	v_lshl_add_u32 v24, v11, 2, 0
	ds_load_b32 v27, v0
	ds_load_b32 v11, v7
	;; [unrolled: 1-line block ×4, first 2 shown]
	ds_load_b32 v6, v0 offset:2464
	v_lshl_add_u32 v23, v23, 2, 0
	global_wb scope:SCOPE_SE
	s_wait_loadcnt_dscnt 0x0
	v_lshl_add_u32 v25, v26, 2, 0
	v_lshl_add_u32 v26, v14, 2, 0
	s_barrier_signal -1
	s_barrier_wait -1
	global_inv scope:SCOPE_SE
	v_mul_f32_e32 v7, v29, v18
	v_mul_f32_e32 v45, v69, v18
	;; [unrolled: 1-line block ×5, first 2 shown]
	v_fma_f32 v48, v69, v17, -v7
	v_fmac_f32_e32 v45, v29, v17
	v_fma_f32 v46, v58, v37, -v18
	s_delay_alu instid0(VALU_DEP_4) | instskip(SKIP_2) | instid1(VALU_DEP_4)
	v_fmac_f32_e32 v43, v66, v39
	v_mul_f32_e32 v33, v65, v51
	v_mul_f32_e32 v36, v21, v55
	v_dual_mul_f32 v34, v71, v57 :: v_dual_add_f32 v17, v70, v46
	v_mul_f32_e32 v35, v59, v51
	v_mul_f32_e32 v41, v62, v55
	s_delay_alu instid0(VALU_DEP_4) | instskip(NEXT) | instid1(VALU_DEP_4)
	v_fmac_f32_e32 v36, v62, v54
	v_fmac_f32_e32 v34, v6, v56
	v_mul_f32_e32 v42, v22, v20
	v_mul_f32_e32 v20, v66, v40
	;; [unrolled: 1-line block ×3, first 2 shown]
	v_dual_fmac_f32 v35, v65, v50 :: v_dual_add_f32 v6, v68, v48
	s_delay_alu instid0(VALU_DEP_3) | instskip(SKIP_3) | instid1(VALU_DEP_3)
	v_fma_f32 v47, v60, v39, -v20
	v_mul_f32_e32 v44, v58, v38
	v_dual_mul_f32 v38, v67, v53 :: v_dual_sub_f32 v39, v36, v34
	v_fmac_f32_e32 v42, v63, v19
	v_dual_add_f32 v17, v17, v47 :: v_dual_fmac_f32 v44, v64, v37
	v_fma_f32 v37, v59, v50, -v33
	s_delay_alu instid0(VALU_DEP_4)
	v_fma_f32 v40, v61, v52, -v38
	v_fma_f32 v38, v21, v54, -v41
	;; [unrolled: 1-line block ×3, first 2 shown]
	v_add_nc_u32_e32 v16, 0x200, v0
	v_add_f32_e32 v20, v5, v37
	v_add_f32_e32 v21, v37, v40
	;; [unrolled: 1-line block ×4, first 2 shown]
	v_fma_f32 v49, v22, v19, -v14
	s_delay_alu instid0(VALU_DEP_4) | instskip(SKIP_1) | instid1(VALU_DEP_4)
	v_dual_add_f32 v18, v46, v47 :: v_dual_fmac_f32 v5, -0.5, v21
	v_mul_f32_e32 v30, v61, v53
	v_fmac_f32_e32 v8, -0.5, v33
	s_delay_alu instid0(VALU_DEP_4) | instskip(NEXT) | instid1(VALU_DEP_4)
	v_add_f32_e32 v7, v48, v49
	v_dual_sub_f32 v19, v44, v43 :: v_dual_fmac_f32 v70, -0.5, v18
	s_delay_alu instid0(VALU_DEP_4) | instskip(SKIP_1) | instid1(VALU_DEP_4)
	v_fmac_f32_e32 v30, v67, v52
	v_add_f32_e32 v50, v6, v49
	v_fmac_f32_e32 v68, -0.5, v7
	v_fmamk_f32 v7, v39, 0x3f5db3d7, v8
	v_dual_fmac_f32 v8, 0xbf5db3d7, v39 :: v_dual_add_nc_u32 v39, v9, v13
	v_sub_f32_e32 v14, v45, v42
	v_sub_f32_e32 v22, v35, v30
	v_add_f32_e32 v18, v20, v40
	v_add_f32_e32 v6, v29, v41
	s_delay_alu instid0(VALU_DEP_4)
	v_fmamk_f32 v20, v14, 0x3f5db3d7, v68
	v_fmac_f32_e32 v68, 0xbf5db3d7, v14
	v_fmamk_f32 v14, v19, 0x3f5db3d7, v70
	v_fmac_f32_e32 v70, 0xbf5db3d7, v19
	;; [unrolled: 2-line block ×3, first 2 shown]
	ds_store_2addr_b32 v25, v50, v20 offset1:32
	ds_store_b32 v25, v68 offset:256
	ds_store_2addr_b32 v24, v17, v14 offset1:32
	ds_store_b32 v24, v70 offset:256
	;; [unrolled: 2-line block ×4, first 2 shown]
	global_wb scope:SCOPE_SE
	s_wait_dscnt 0x0
	s_barrier_signal -1
	s_barrier_wait -1
	global_inv scope:SCOPE_SE
	ds_load_2addr_b32 v[17:18], v0 offset1:96
	ds_load_2addr_b32 v[19:20], v16 offset0:64 offset1:160
	ds_load_2addr_b32 v[21:22], v15 offset0:128 offset1:224
	ds_load_b32 v33, v0 offset:2304
                                        ; implicit-def: $vgpr14
	s_and_saveexec_b32 s1, s0
	s_cbranch_execz .LBB0_15
; %bb.14:
	ds_load_b32 v29, v39
	ds_load_2addr_b32 v[5:6], v0 offset0:152 offset1:248
	ds_load_2addr_b32 v[7:8], v15 offset0:88 offset1:184
	;; [unrolled: 1-line block ×3, first 2 shown]
.LBB0_15:
	s_wait_alu 0xfffe
	s_or_b32 exec_lo, exec_lo, s1
	v_dual_add_f32 v9, v45, v42 :: v_dual_add_f32 v12, v27, v45
	v_sub_f32_e32 v45, v48, v49
	v_add_f32_e32 v48, v44, v43
	global_wb scope:SCOPE_SE
	s_wait_dscnt 0x0
	v_fmac_f32_e32 v27, -0.5, v9
	v_dual_add_f32 v9, v28, v44 :: v_dual_sub_f32 v44, v46, v47
	v_add_f32_e32 v42, v12, v42
	v_add_f32_e32 v12, v36, v34
	s_delay_alu instid0(VALU_DEP_4) | instskip(NEXT) | instid1(VALU_DEP_4)
	v_fmamk_f32 v46, v45, 0xbf5db3d7, v27
	v_dual_fmac_f32 v28, -0.5, v48 :: v_dual_add_f32 v43, v9, v43
	v_add_f32_e32 v9, v35, v30
	v_dual_fmac_f32 v27, 0x3f5db3d7, v45 :: v_dual_add_f32 v36, v10, v36
	s_delay_alu instid0(VALU_DEP_3) | instskip(SKIP_1) | instid1(VALU_DEP_4)
	v_fmamk_f32 v45, v44, 0xbf5db3d7, v28
	v_dual_fmac_f32 v28, 0x3f5db3d7, v44 :: v_dual_add_f32 v35, v11, v35
	v_dual_fmac_f32 v11, -0.5, v9 :: v_dual_fmac_f32 v10, -0.5, v12
	s_delay_alu instid0(VALU_DEP_4) | instskip(SKIP_1) | instid1(VALU_DEP_4)
	v_dual_sub_f32 v9, v37, v40 :: v_dual_add_f32 v12, v36, v34
	v_sub_f32_e32 v37, v38, v41
	v_add_f32_e32 v35, v35, v30
	s_barrier_signal -1
	s_delay_alu instid0(VALU_DEP_3)
	v_fmamk_f32 v30, v9, 0xbf5db3d7, v11
	v_fmac_f32_e32 v11, 0x3f5db3d7, v9
	v_fmamk_f32 v9, v37, 0xbf5db3d7, v10
	v_fmac_f32_e32 v10, 0x3f5db3d7, v37
	s_barrier_wait -1
	global_inv scope:SCOPE_SE
	ds_store_2addr_b32 v25, v42, v46 offset1:32
	ds_store_b32 v25, v27 offset:256
	ds_store_2addr_b32 v24, v43, v45 offset1:32
	ds_store_b32 v24, v28 offset:256
	ds_store_2addr_b32 v23, v35, v30 offset1:32
	ds_store_b32 v23, v11 offset:256
	ds_store_2addr_b32 v26, v12, v9 offset1:32
	ds_store_b32 v26, v10 offset:256
	global_wb scope:SCOPE_SE
	s_wait_dscnt 0x0
	s_barrier_signal -1
	s_barrier_wait -1
	global_inv scope:SCOPE_SE
	ds_load_2addr_b32 v[23:24], v0 offset1:96
	ds_load_2addr_b32 v[25:26], v16 offset0:64 offset1:160
	ds_load_2addr_b32 v[27:28], v15 offset0:128 offset1:224
	ds_load_b32 v34, v0 offset:2304
                                        ; implicit-def: $vgpr16
	s_and_saveexec_b32 s1, s0
	s_cbranch_execz .LBB0_17
; %bb.16:
	v_add_nc_u32_e32 v9, 0x400, v0
	v_add_nc_u32_e32 v15, 0x800, v0
	ds_load_b32 v30, v39
	ds_load_2addr_b32 v[11:12], v0 offset0:152 offset1:248
	ds_load_2addr_b32 v[9:10], v9 offset0:88 offset1:184
	ds_load_2addr_b32 v[15:16], v15 offset0:24 offset1:120
.LBB0_17:
	s_wait_alu 0xfffe
	s_or_b32 exec_lo, exec_lo, s1
	s_and_saveexec_b32 s1, vcc_lo
	s_cbranch_execz .LBB0_20
; %bb.18:
	v_mul_u32_u24_e32 v0, 6, v31
	v_mul_lo_u32 v49, s3, v3
	v_mul_lo_u32 v4, s2, v4
	v_mad_co_u64_u32 v[47:48], null, s2, v3, 0
	s_delay_alu instid0(VALU_DEP_4)
	v_lshlrev_b32_e32 v0, 3, v0
	s_clause 0x2
	global_load_b128 v[35:38], v0, s[4:5] offset:752
	global_load_b128 v[39:42], v0, s[4:5] offset:784
	;; [unrolled: 1-line block ×3, first 2 shown]
	v_mul_hi_u32 v0, 0xaaaaaaab, v31
	v_add3_u32 v48, v48, v4, v49
	s_delay_alu instid0(VALU_DEP_1) | instskip(NEXT) | instid1(VALU_DEP_3)
	v_lshlrev_b64_e32 v[47:48], 3, v[47:48]
	v_lshrrev_b32_e32 v0, 6, v0
	s_delay_alu instid0(VALU_DEP_2) | instskip(NEXT) | instid1(VALU_DEP_2)
	v_add_co_u32 v69, s1, s10, v47
	v_mul_lo_u32 v4, 0x60, v0
	s_wait_alu 0xf1fe
	s_delay_alu instid0(VALU_DEP_4) | instskip(SKIP_1) | instid1(VALU_DEP_3)
	v_add_co_ci_u32_e64 v70, s1, s11, v48, s1
	v_lshlrev_b64_e32 v[0:1], 3, v[1:2]
	v_sub_nc_u32_e32 v4, v31, v4
	s_delay_alu instid0(VALU_DEP_2) | instskip(SKIP_1) | instid1(VALU_DEP_3)
	v_add_co_u32 v0, s1, v69, v0
	s_wait_alu 0xf1ff
	v_add_co_ci_u32_e64 v1, s1, v70, v1, s1
	s_delay_alu instid0(VALU_DEP_3)
	v_mad_co_u64_u32 v[47:48], null, s16, v4, 0
	v_add_nc_u32_e32 v64, 0xc0, v4
	v_add_nc_u32_e32 v63, 0x60, v4
	v_add_nc_u32_e32 v3, 56, v31
	v_or_b32_e32 v66, 0x180, v4
	v_add_nc_u32_e32 v67, 0x1e0, v4
	v_mad_co_u64_u32 v[51:52], null, s16, v64, 0
	v_dual_mov_b32 v2, v48 :: v_dual_add_nc_u32 v65, 0x120, v4
	v_mad_co_u64_u32 v[49:50], null, s16, v63, 0
	v_add_nc_u32_e32 v68, 0x240, v4
	v_mad_co_u64_u32 v[55:56], null, s16, v66, 0
	s_delay_alu instid0(VALU_DEP_4)
	v_mad_co_u64_u32 v[61:62], null, s17, v4, v[2:3]
	v_mov_b32_e32 v4, v52
	v_mad_co_u64_u32 v[53:54], null, s16, v65, 0
	v_mov_b32_e32 v2, v50
	v_mad_co_u64_u32 v[59:60], null, s16, v68, 0
	v_cmp_gt_u32_e32 vcc_lo, 0x60, v3
	s_delay_alu instid0(VALU_DEP_3) | instskip(SKIP_3) | instid1(VALU_DEP_3)
	v_mad_co_u64_u32 v[62:63], null, s17, v63, v[2:3]
	v_mov_b32_e32 v48, v54
	v_mad_co_u64_u32 v[63:64], null, s17, v64, v[4:5]
	v_mad_co_u64_u32 v[57:58], null, s16, v67, 0
	v_mad_co_u64_u32 v[64:65], null, s17, v65, v[48:49]
	v_mov_b32_e32 v48, v61
	s_wait_loadcnt_dscnt 0x100
	v_mul_f32_e32 v4, v34, v42
	s_wait_loadcnt 0x0
	v_mul_f32_e32 v61, v27, v46
	v_mul_f32_e32 v46, v21, v46
	v_mul_f32_e32 v42, v33, v42
	v_fma_f32 v4, v33, v41, -v4
	s_delay_alu instid0(VALU_DEP_3) | instskip(SKIP_1) | instid1(VALU_DEP_4)
	v_fmac_f32_e32 v46, v27, v45
	v_mov_b32_e32 v50, v56
	v_fmac_f32_e32 v42, v34, v41
	s_delay_alu instid0(VALU_DEP_2) | instskip(SKIP_3) | instid1(VALU_DEP_2)
	v_mad_co_u64_u32 v[65:66], null, s17, v66, v[50:51]
	v_mov_b32_e32 v50, v62
	v_mul_f32_e32 v62, v26, v44
	v_mul_f32_e32 v44, v20, v44
	v_fma_f32 v20, v20, v43, -v62
	s_delay_alu instid0(VALU_DEP_2) | instskip(NEXT) | instid1(VALU_DEP_1)
	v_fmac_f32_e32 v44, v26, v43
	v_add_f32_e32 v27, v46, v44
	v_mul_f32_e32 v2, v24, v36
	v_mul_f32_e32 v36, v18, v36
	s_delay_alu instid0(VALU_DEP_2) | instskip(NEXT) | instid1(VALU_DEP_2)
	v_fma_f32 v2, v18, v35, -v2
	v_fmac_f32_e32 v36, v24, v35
	v_mov_b32_e32 v52, v58
	v_fma_f32 v18, v21, v45, -v61
	s_delay_alu instid0(VALU_DEP_3) | instskip(NEXT) | instid1(VALU_DEP_3)
	v_add_f32_e32 v26, v36, v42
	v_mad_co_u64_u32 v[66:67], null, s17, v67, v[52:53]
	v_dual_mov_b32 v52, v63 :: v_dual_mul_f32 v63, v25, v38
	s_delay_alu instid0(VALU_DEP_3) | instskip(SKIP_1) | instid1(VALU_DEP_3)
	v_dual_sub_f32 v35, v26, v27 :: v_dual_mul_f32 v38, v19, v38
	v_sub_f32_e32 v24, v18, v20
	v_lshlrev_b64_e32 v[51:52], 3, v[51:52]
	s_delay_alu instid0(VALU_DEP_4) | instskip(NEXT) | instid1(VALU_DEP_4)
	v_fma_f32 v19, v19, v37, -v63
	v_fmac_f32_e32 v38, v25, v37
	v_mov_b32_e32 v54, v60
	s_delay_alu instid0(VALU_DEP_1) | instskip(SKIP_3) | instid1(VALU_DEP_2)
	v_mad_co_u64_u32 v[67:68], null, s17, v68, v[54:55]
	v_mov_b32_e32 v54, v64
	v_mul_f32_e32 v64, v28, v40
	v_mul_f32_e32 v40, v22, v40
	v_fma_f32 v21, v22, v39, -v64
	s_delay_alu instid0(VALU_DEP_2)
	v_fmac_f32_e32 v40, v28, v39
	v_sub_f32_e32 v22, v2, v4
	v_add_f32_e32 v2, v2, v4
	v_add_f32_e32 v4, v18, v20
	;; [unrolled: 1-line block ×3, first 2 shown]
	v_dual_add_f32 v28, v38, v40 :: v_dual_sub_f32 v25, v19, v21
	v_dual_sub_f32 v19, v36, v42 :: v_dual_sub_f32 v20, v46, v44
	v_sub_f32_e32 v21, v38, v40
	s_delay_alu instid0(VALU_DEP_3)
	v_add_f32_e32 v37, v26, v28
	v_add_f32_e32 v40, v2, v18
	v_sub_f32_e32 v33, v22, v24
	v_lshlrev_b64_e32 v[47:48], 3, v[47:48]
	v_dual_mov_b32 v56, v65 :: v_dual_sub_f32 v41, v19, v20
	v_mov_b32_e32 v58, v66
	v_mov_b32_e32 v60, v67
	v_sub_f32_e32 v34, v24, v25
	v_add_f32_e32 v24, v24, v25
	v_sub_f32_e32 v36, v27, v28
	v_dual_sub_f32 v38, v2, v4 :: v_dual_sub_f32 v39, v4, v18
	v_sub_f32_e32 v42, v20, v21
	v_dual_add_f32 v20, v20, v21 :: v_dual_sub_f32 v21, v21, v19
	v_sub_f32_e32 v25, v25, v22
	v_dual_add_f32 v27, v27, v37 :: v_dual_add_f32 v4, v4, v40
	v_lshlrev_b64_e32 v[49:50], 3, v[49:50]
	v_add_co_u32 v47, s1, v0, v47
	v_sub_f32_e32 v26, v28, v26
	v_sub_f32_e32 v2, v18, v2
	v_mul_f32_e32 v28, 0xbf08b237, v34
	v_add_f32_e32 v22, v22, v24
	v_mul_f32_e32 v24, 0x3f4a47b2, v35
	v_mul_f32_e32 v34, 0x3d64c772, v36
	;; [unrolled: 1-line block ×5, first 2 shown]
	v_dual_add_f32 v19, v19, v20 :: v_dual_mul_f32 v20, 0x3f5ff5aa, v25
	v_mul_f32_e32 v40, 0x3f5ff5aa, v21
	v_dual_add_f32 v18, v23, v27 :: v_dual_add_f32 v17, v17, v4
	s_wait_alu 0xf1ff
	v_add_co_ci_u32_e64 v48, s1, v1, v48, s1
	v_lshlrev_b64_e32 v[53:54], 3, v[53:54]
	v_add_co_u32 v49, s1, v0, v49
	s_wait_alu 0xf1ff
	v_add_co_ci_u32_e64 v50, s1, v1, v50, s1
	v_fmamk_f32 v42, v33, 0x3eae86e6, v28
	v_fmamk_f32 v35, v35, 0x3f4a47b2, v34
	;; [unrolled: 1-line block ×4, first 2 shown]
	v_fma_f32 v33, 0xbeae86e6, v33, -v20
	v_fma_f32 v20, 0xbf3bfb3b, v26, -v24
	;; [unrolled: 1-line block ×5, first 2 shown]
	v_dual_fmamk_f32 v27, v27, 0xbf955555, v18 :: v_dual_fmamk_f32 v4, v4, 0xbf955555, v17
	v_lshlrev_b64_e32 v[55:56], 3, v[55:56]
	v_add_co_u32 v51, s1, v0, v51
	v_fma_f32 v26, 0x3f3bfb3b, v26, -v34
	v_fma_f32 v25, 0x3f5ff5aa, v25, -v28
	v_fma_f32 v2, 0x3f3bfb3b, v2, -v37
	s_wait_alu 0xf1ff
	v_add_co_ci_u32_e64 v52, s1, v1, v52, s1
	v_lshlrev_b64_e32 v[57:58], 3, v[57:58]
	v_add_co_u32 v53, s1, v0, v53
	v_fmac_f32_e32 v42, 0x3ee1c552, v22
	v_dual_fmac_f32 v38, 0x3ee1c552, v19 :: v_dual_fmac_f32 v33, 0x3ee1c552, v22
	v_fmac_f32_e32 v36, 0x3ee1c552, v19
	v_fmac_f32_e32 v21, 0x3ee1c552, v19
	v_add_f32_e32 v19, v35, v27
	v_dual_add_f32 v23, v23, v4 :: v_dual_add_f32 v28, v20, v27
	s_wait_alu 0xf1ff
	v_add_co_ci_u32_e64 v54, s1, v1, v54, s1
	v_dual_fmac_f32 v25, 0x3ee1c552, v22 :: v_dual_add_f32 v34, v24, v4
	v_add_f32_e32 v24, v26, v27
	v_lshlrev_b64_e32 v[59:60], 3, v[59:60]
	v_add_co_u32 v55, s1, v0, v55
	v_add_f32_e32 v2, v2, v4
	s_wait_alu 0xf1ff
	v_add_co_ci_u32_e64 v56, s1, v1, v56, s1
	v_add_co_u32 v57, s1, v0, v57
	v_add_f32_e32 v20, v33, v28
	v_sub_f32_e32 v26, v28, v33
	v_dual_sub_f32 v28, v19, v42 :: v_dual_add_f32 v27, v38, v23
	v_sub_f32_e32 v22, v24, v25
	v_dual_add_f32 v24, v25, v24 :: v_dual_add_f32 v25, v36, v34
	s_wait_alu 0xf1ff
	v_add_co_ci_u32_e64 v58, s1, v1, v58, s1
	global_store_b64 v[47:48], v[17:18], off
	v_sub_f32_e32 v17, v23, v38
	v_sub_f32_e32 v23, v2, v21
	v_add_co_u32 v59, s1, v0, v59
	v_dual_add_f32 v21, v21, v2 :: v_dual_add_f32 v18, v42, v19
	v_sub_f32_e32 v19, v34, v36
	s_wait_alu 0xf1ff
	v_add_co_ci_u32_e64 v60, s1, v1, v60, s1
	s_clause 0x5
	global_store_b64 v[49:50], v[27:28], off
	global_store_b64 v[51:52], v[25:26], off
	;; [unrolled: 1-line block ×6, first 2 shown]
	s_and_b32 exec_lo, exec_lo, vcc_lo
	s_cbranch_execz .LBB0_20
; %bb.19:
	v_subrev_nc_u32_e32 v2, 40, v31
	v_dual_mov_b32 v18, 0 :: v_dual_add_nc_u32 v47, 0xf8, v31
	v_add_nc_u32_e32 v46, 0x98, v31
	v_add_nc_u32_e32 v48, 0x158, v31
	s_delay_alu instid0(VALU_DEP_4) | instskip(SKIP_3) | instid1(VALU_DEP_4)
	v_cndmask_b32_e64 v2, v2, v32, s0
	v_mad_co_u64_u32 v[32:33], null, s16, v3, 0
	v_add_nc_u32_e32 v49, 0x1b8, v31
	v_mad_co_u64_u32 v[36:37], null, s16, v47, 0
	v_mul_i32_i24_e32 v17, 6, v2
	v_add_nc_u32_e32 v51, 0x278, v31
	v_mad_co_u64_u32 v[34:35], null, s16, v46, 0
	v_mov_b32_e32 v2, v33
	s_delay_alu instid0(VALU_DEP_4)
	v_lshlrev_b64_e32 v[17:18], 3, v[17:18]
	v_mov_b32_e32 v4, v37
	v_mad_co_u64_u32 v[40:41], null, s16, v49, 0
	v_add_nc_u32_e32 v50, 0x218, v31
	v_mad_co_u64_u32 v[38:39], null, s16, v48, 0
	v_add_co_u32 v25, vcc_lo, s4, v17
	s_wait_alu 0xfffd
	v_add_co_ci_u32_e32 v26, vcc_lo, s5, v18, vcc_lo
	v_mov_b32_e32 v33, v41
	s_clause 0x2
	global_load_b128 v[17:20], v[25:26], off offset:752
	global_load_b128 v[21:24], v[25:26], off offset:768
	;; [unrolled: 1-line block ×3, first 2 shown]
	v_mad_co_u64_u32 v[44:45], null, s16, v51, 0
	v_mad_co_u64_u32 v[2:3], null, s17, v3, v[2:3]
	;; [unrolled: 1-line block ×3, first 2 shown]
	v_mov_b32_e32 v3, v35
	v_mov_b32_e32 v31, v39
	;; [unrolled: 1-line block ×3, first 2 shown]
	s_delay_alu instid0(VALU_DEP_3)
	v_mad_co_u64_u32 v[45:46], null, s17, v46, v[3:4]
	v_mov_b32_e32 v35, v43
	v_mad_co_u64_u32 v[3:4], null, s17, v47, v[4:5]
	v_mad_co_u64_u32 v[46:47], null, s17, v48, v[31:32]
	v_mad_co_u64_u32 v[47:48], null, s17, v49, v[33:34]
	v_mov_b32_e32 v33, v2
	s_delay_alu instid0(VALU_DEP_3) | instskip(NEXT) | instid1(VALU_DEP_2)
	v_mov_b32_e32 v39, v46
	v_lshlrev_b64_e32 v[31:32], 3, v[32:33]
	s_delay_alu instid0(VALU_DEP_4) | instskip(NEXT) | instid1(VALU_DEP_2)
	v_mov_b32_e32 v41, v47
	v_add_co_u32 v31, vcc_lo, v0, v31
	s_wait_alu 0xfffd
	s_delay_alu instid0(VALU_DEP_3)
	v_add_co_ci_u32_e32 v32, vcc_lo, v1, v32, vcc_lo
	s_wait_loadcnt 0x2
	v_mul_f32_e32 v4, v11, v18
	v_mul_f32_e32 v18, v5, v18
	v_mad_co_u64_u32 v[48:49], null, s17, v50, v[35:36]
	v_mov_b32_e32 v35, v45
	v_mad_co_u64_u32 v[49:50], null, s17, v51, v[37:38]
	v_mov_b32_e32 v37, v3
	v_fma_f32 v4, v5, v17, -v4
	s_delay_alu instid0(VALU_DEP_4) | instskip(SKIP_1) | instid1(VALU_DEP_4)
	v_lshlrev_b64_e32 v[2:3], 3, v[34:35]
	v_dual_mov_b32 v43, v48 :: v_dual_fmac_f32 v18, v11, v17
	v_lshlrev_b64_e32 v[33:34], 3, v[36:37]
	v_lshlrev_b64_e32 v[35:36], 3, v[38:39]
	;; [unrolled: 1-line block ×3, first 2 shown]
	v_add_co_u32 v2, vcc_lo, v0, v2
	s_wait_alu 0xfffd
	v_add_co_ci_u32_e32 v3, vcc_lo, v1, v3, vcc_lo
	v_add_co_u32 v33, vcc_lo, v0, v33
	v_mov_b32_e32 v45, v49
	s_wait_alu 0xfffd
	v_add_co_ci_u32_e32 v34, vcc_lo, v1, v34, vcc_lo
	v_lshlrev_b64_e32 v[39:40], 3, v[42:43]
	v_add_co_u32 v35, vcc_lo, v0, v35
	s_wait_alu 0xfffd
	v_add_co_ci_u32_e32 v36, vcc_lo, v1, v36, vcc_lo
	v_lshlrev_b64_e32 v[41:42], 3, v[44:45]
	v_add_co_u32 v37, vcc_lo, v0, v37
	s_wait_alu 0xfffd
	v_add_co_ci_u32_e32 v38, vcc_lo, v1, v38, vcc_lo
	v_add_co_u32 v39, vcc_lo, v0, v39
	s_wait_alu 0xfffd
	v_add_co_ci_u32_e32 v40, vcc_lo, v1, v40, vcc_lo
	;; [unrolled: 3-line block ×3, first 2 shown]
	s_wait_loadcnt 0x1
	v_dual_mul_f32 v41, v12, v20 :: v_dual_mul_f32 v42, v9, v22
	v_mul_f32_e32 v22, v7, v22
	s_wait_loadcnt 0x0
	v_dual_mul_f32 v44, v15, v26 :: v_dual_mul_f32 v45, v16, v28
	v_mul_f32_e32 v28, v14, v28
	v_mul_f32_e32 v20, v6, v20
	v_dual_fmac_f32 v22, v9, v21 :: v_dual_mul_f32 v43, v10, v24
	v_mul_f32_e32 v24, v8, v24
	v_mul_f32_e32 v26, v13, v26
	s_delay_alu instid0(VALU_DEP_4)
	v_fmac_f32_e32 v20, v12, v19
	v_fma_f32 v5, v6, v19, -v41
	v_fma_f32 v9, v13, v25, -v44
	v_fmac_f32_e32 v28, v16, v27
	v_fma_f32 v6, v7, v21, -v42
	v_fma_f32 v7, v8, v23, -v43
	;; [unrolled: 1-line block ×3, first 2 shown]
	v_add_f32_e32 v12, v5, v9
	v_sub_f32_e32 v5, v5, v9
	v_dual_fmac_f32 v26, v15, v25 :: v_dual_add_f32 v11, v18, v28
	s_delay_alu instid0(VALU_DEP_1) | instskip(SKIP_1) | instid1(VALU_DEP_2)
	v_dual_fmac_f32 v24, v10, v23 :: v_dual_add_f32 v13, v20, v26
	v_add_f32_e32 v10, v4, v8
	v_add_f32_e32 v15, v22, v24
	v_sub_f32_e32 v4, v4, v8
	v_dual_sub_f32 v8, v18, v28 :: v_dual_sub_f32 v9, v20, v26
	v_add_f32_e32 v14, v6, v7
	v_sub_f32_e32 v6, v7, v6
	v_sub_f32_e32 v7, v24, v22
	v_dual_add_f32 v17, v13, v11 :: v_dual_add_f32 v16, v12, v10
	v_sub_f32_e32 v19, v13, v11
	v_dual_sub_f32 v11, v11, v15 :: v_dual_sub_f32 v18, v12, v10
	v_dual_sub_f32 v13, v15, v13 :: v_dual_sub_f32 v10, v10, v14
	v_dual_add_f32 v21, v7, v9 :: v_dual_sub_f32 v12, v14, v12
	v_sub_f32_e32 v23, v7, v9
	v_dual_sub_f32 v7, v8, v7 :: v_dual_add_f32 v20, v6, v5
	v_dual_sub_f32 v9, v9, v8 :: v_dual_sub_f32 v22, v6, v5
	v_dual_mul_f32 v11, 0x3f4a47b2, v11 :: v_dual_sub_f32 v6, v4, v6
	v_dual_add_f32 v15, v15, v17 :: v_dual_sub_f32 v24, v5, v4
	s_delay_alu instid0(VALU_DEP_3) | instskip(NEXT) | instid1(VALU_DEP_2)
	v_dual_add_f32 v14, v14, v16 :: v_dual_mul_f32 v25, 0x3f5ff5aa, v9
	v_dual_add_f32 v16, v20, v4 :: v_dual_add_f32 v5, v30, v15
	v_dual_mul_f32 v17, 0x3d64c772, v12 :: v_dual_mul_f32 v20, 0x3d64c772, v13
	v_fmamk_f32 v13, v13, 0x3d64c772, v11
	v_mul_f32_e32 v10, 0x3f4a47b2, v10
	v_dual_add_f32 v8, v21, v8 :: v_dual_mul_f32 v21, 0xbf08b237, v22
	v_add_f32_e32 v4, v29, v14
	v_fma_f32 v17, 0x3f3bfb3b, v18, -v17
	s_delay_alu instid0(VALU_DEP_4)
	v_fmamk_f32 v12, v12, 0x3d64c772, v10
	v_fma_f32 v10, 0xbf3bfb3b, v18, -v10
	v_mul_f32_e32 v22, 0xbf08b237, v23
	v_mul_f32_e32 v23, 0x3f5ff5aa, v24
	v_fma_f32 v20, 0x3f3bfb3b, v19, -v20
	v_fma_f32 v11, 0xbf3bfb3b, v19, -v11
	s_delay_alu instid0(VALU_DEP_4)
	v_dual_fmamk_f32 v18, v6, 0x3eae86e6, v21 :: v_dual_fmamk_f32 v19, v7, 0x3eae86e6, v22
	v_fma_f32 v21, 0x3f5ff5aa, v24, -v21
	v_fma_f32 v23, 0xbeae86e6, v6, -v23
	;; [unrolled: 1-line block ×3, first 2 shown]
	v_dual_fmamk_f32 v6, v14, 0xbf955555, v4 :: v_dual_fmamk_f32 v7, v15, 0xbf955555, v5
	v_fmac_f32_e32 v19, 0x3ee1c552, v8
	v_fmac_f32_e32 v21, 0x3ee1c552, v16
	;; [unrolled: 1-line block ×3, first 2 shown]
	s_delay_alu instid0(VALU_DEP_4)
	v_dual_fmac_f32 v18, 0x3ee1c552, v16 :: v_dual_add_f32 v15, v13, v7
	v_dual_add_f32 v16, v11, v7 :: v_dual_add_f32 v13, v10, v6
	v_fma_f32 v22, 0x3f5ff5aa, v9, -v22
	global_store_b64 v[31:32], v[4:5], off
	v_add_f32_e32 v11, v20, v7
	v_sub_f32_e32 v7, v16, v23
	v_sub_f32_e32 v5, v15, v18
	v_add_f32_e32 v14, v12, v6
	v_fmac_f32_e32 v24, 0x3ee1c552, v8
	v_dual_fmac_f32 v22, 0x3ee1c552, v8 :: v_dual_add_f32 v9, v21, v11
	v_add_f32_e32 v12, v17, v6
	s_delay_alu instid0(VALU_DEP_4)
	v_add_f32_e32 v4, v19, v14
	v_sub_f32_e32 v11, v11, v21
	v_add_f32_e32 v6, v24, v13
	v_sub_f32_e32 v14, v14, v19
	v_dual_sub_f32 v8, v12, v22 :: v_dual_add_f32 v15, v18, v15
	v_add_f32_e32 v10, v22, v12
	v_sub_f32_e32 v12, v13, v24
	v_add_f32_e32 v13, v23, v16
	s_clause 0x5
	global_store_b64 v[2:3], v[4:5], off
	global_store_b64 v[33:34], v[6:7], off
	;; [unrolled: 1-line block ×6, first 2 shown]
.LBB0_20:
	s_nop 0
	s_sendmsg sendmsg(MSG_DEALLOC_VGPRS)
	s_endpgm
	.section	.rodata,"a",@progbits
	.p2align	6, 0x0
	.amdhsa_kernel fft_rtc_fwd_len672_factors_2_2_2_2_2_3_7_wgs_56_tpt_56_halfLds_sp_op_CI_CI_sbrr_dirReg
		.amdhsa_group_segment_fixed_size 0
		.amdhsa_private_segment_fixed_size 0
		.amdhsa_kernarg_size 104
		.amdhsa_user_sgpr_count 2
		.amdhsa_user_sgpr_dispatch_ptr 0
		.amdhsa_user_sgpr_queue_ptr 0
		.amdhsa_user_sgpr_kernarg_segment_ptr 1
		.amdhsa_user_sgpr_dispatch_id 0
		.amdhsa_user_sgpr_private_segment_size 0
		.amdhsa_wavefront_size32 1
		.amdhsa_uses_dynamic_stack 0
		.amdhsa_enable_private_segment 0
		.amdhsa_system_sgpr_workgroup_id_x 1
		.amdhsa_system_sgpr_workgroup_id_y 0
		.amdhsa_system_sgpr_workgroup_id_z 0
		.amdhsa_system_sgpr_workgroup_info 0
		.amdhsa_system_vgpr_workitem_id 0
		.amdhsa_next_free_vgpr 73
		.amdhsa_next_free_sgpr 43
		.amdhsa_reserve_vcc 1
		.amdhsa_float_round_mode_32 0
		.amdhsa_float_round_mode_16_64 0
		.amdhsa_float_denorm_mode_32 3
		.amdhsa_float_denorm_mode_16_64 3
		.amdhsa_fp16_overflow 0
		.amdhsa_workgroup_processor_mode 1
		.amdhsa_memory_ordered 1
		.amdhsa_forward_progress 0
		.amdhsa_round_robin_scheduling 0
		.amdhsa_exception_fp_ieee_invalid_op 0
		.amdhsa_exception_fp_denorm_src 0
		.amdhsa_exception_fp_ieee_div_zero 0
		.amdhsa_exception_fp_ieee_overflow 0
		.amdhsa_exception_fp_ieee_underflow 0
		.amdhsa_exception_fp_ieee_inexact 0
		.amdhsa_exception_int_div_zero 0
	.end_amdhsa_kernel
	.text
.Lfunc_end0:
	.size	fft_rtc_fwd_len672_factors_2_2_2_2_2_3_7_wgs_56_tpt_56_halfLds_sp_op_CI_CI_sbrr_dirReg, .Lfunc_end0-fft_rtc_fwd_len672_factors_2_2_2_2_2_3_7_wgs_56_tpt_56_halfLds_sp_op_CI_CI_sbrr_dirReg
                                        ; -- End function
	.section	.AMDGPU.csdata,"",@progbits
; Kernel info:
; codeLenInByte = 9988
; NumSgprs: 45
; NumVgprs: 73
; ScratchSize: 0
; MemoryBound: 0
; FloatMode: 240
; IeeeMode: 1
; LDSByteSize: 0 bytes/workgroup (compile time only)
; SGPRBlocks: 5
; VGPRBlocks: 9
; NumSGPRsForWavesPerEU: 45
; NumVGPRsForWavesPerEU: 73
; Occupancy: 16
; WaveLimiterHint : 1
; COMPUTE_PGM_RSRC2:SCRATCH_EN: 0
; COMPUTE_PGM_RSRC2:USER_SGPR: 2
; COMPUTE_PGM_RSRC2:TRAP_HANDLER: 0
; COMPUTE_PGM_RSRC2:TGID_X_EN: 1
; COMPUTE_PGM_RSRC2:TGID_Y_EN: 0
; COMPUTE_PGM_RSRC2:TGID_Z_EN: 0
; COMPUTE_PGM_RSRC2:TIDIG_COMP_CNT: 0
	.text
	.p2alignl 7, 3214868480
	.fill 96, 4, 3214868480
	.type	__hip_cuid_23ef8b19c3d7f468,@object ; @__hip_cuid_23ef8b19c3d7f468
	.section	.bss,"aw",@nobits
	.globl	__hip_cuid_23ef8b19c3d7f468
__hip_cuid_23ef8b19c3d7f468:
	.byte	0                               ; 0x0
	.size	__hip_cuid_23ef8b19c3d7f468, 1

	.ident	"AMD clang version 19.0.0git (https://github.com/RadeonOpenCompute/llvm-project roc-6.4.0 25133 c7fe45cf4b819c5991fe208aaa96edf142730f1d)"
	.section	".note.GNU-stack","",@progbits
	.addrsig
	.addrsig_sym __hip_cuid_23ef8b19c3d7f468
	.amdgpu_metadata
---
amdhsa.kernels:
  - .args:
      - .actual_access:  read_only
        .address_space:  global
        .offset:         0
        .size:           8
        .value_kind:     global_buffer
      - .offset:         8
        .size:           8
        .value_kind:     by_value
      - .actual_access:  read_only
        .address_space:  global
        .offset:         16
        .size:           8
        .value_kind:     global_buffer
      - .actual_access:  read_only
        .address_space:  global
        .offset:         24
        .size:           8
        .value_kind:     global_buffer
      - .actual_access:  read_only
        .address_space:  global
        .offset:         32
        .size:           8
        .value_kind:     global_buffer
      - .offset:         40
        .size:           8
        .value_kind:     by_value
      - .actual_access:  read_only
        .address_space:  global
        .offset:         48
        .size:           8
        .value_kind:     global_buffer
      - .actual_access:  read_only
        .address_space:  global
        .offset:         56
        .size:           8
        .value_kind:     global_buffer
      - .offset:         64
        .size:           4
        .value_kind:     by_value
      - .actual_access:  read_only
        .address_space:  global
        .offset:         72
        .size:           8
        .value_kind:     global_buffer
      - .actual_access:  read_only
        .address_space:  global
        .offset:         80
        .size:           8
        .value_kind:     global_buffer
      - .actual_access:  read_only
        .address_space:  global
        .offset:         88
        .size:           8
        .value_kind:     global_buffer
      - .actual_access:  write_only
        .address_space:  global
        .offset:         96
        .size:           8
        .value_kind:     global_buffer
    .group_segment_fixed_size: 0
    .kernarg_segment_align: 8
    .kernarg_segment_size: 104
    .language:       OpenCL C
    .language_version:
      - 2
      - 0
    .max_flat_workgroup_size: 56
    .name:           fft_rtc_fwd_len672_factors_2_2_2_2_2_3_7_wgs_56_tpt_56_halfLds_sp_op_CI_CI_sbrr_dirReg
    .private_segment_fixed_size: 0
    .sgpr_count:     45
    .sgpr_spill_count: 0
    .symbol:         fft_rtc_fwd_len672_factors_2_2_2_2_2_3_7_wgs_56_tpt_56_halfLds_sp_op_CI_CI_sbrr_dirReg.kd
    .uniform_work_group_size: 1
    .uses_dynamic_stack: false
    .vgpr_count:     73
    .vgpr_spill_count: 0
    .wavefront_size: 32
    .workgroup_processor_mode: 1
amdhsa.target:   amdgcn-amd-amdhsa--gfx1201
amdhsa.version:
  - 1
  - 2
...

	.end_amdgpu_metadata
